;; amdgpu-corpus repo=ROCm/rocFFT kind=compiled arch=gfx906 opt=O3
	.text
	.amdgcn_target "amdgcn-amd-amdhsa--gfx906"
	.amdhsa_code_object_version 6
	.protected	fft_rtc_back_len756_factors_2_2_3_3_3_7_wgs_63_tpt_63_half_op_CI_CI_unitstride_sbrr_dirReg ; -- Begin function fft_rtc_back_len756_factors_2_2_3_3_3_7_wgs_63_tpt_63_half_op_CI_CI_unitstride_sbrr_dirReg
	.globl	fft_rtc_back_len756_factors_2_2_3_3_3_7_wgs_63_tpt_63_half_op_CI_CI_unitstride_sbrr_dirReg
	.p2align	8
	.type	fft_rtc_back_len756_factors_2_2_3_3_3_7_wgs_63_tpt_63_half_op_CI_CI_unitstride_sbrr_dirReg,@function
fft_rtc_back_len756_factors_2_2_3_3_3_7_wgs_63_tpt_63_half_op_CI_CI_unitstride_sbrr_dirReg: ; @fft_rtc_back_len756_factors_2_2_3_3_3_7_wgs_63_tpt_63_half_op_CI_CI_unitstride_sbrr_dirReg
; %bb.0:
	s_load_dwordx4 s[8:11], s[4:5], 0x58
	s_load_dwordx4 s[12:15], s[4:5], 0x0
	;; [unrolled: 1-line block ×3, first 2 shown]
	v_mul_u32_u24_e32 v1, 0x411, v0
	v_mov_b32_e32 v8, 0
	v_mov_b32_e32 v6, 0
	s_waitcnt lgkmcnt(0)
	v_cmp_lt_u64_e64 s[0:1], s[14:15], 2
	v_add_u32_sdwa v10, s6, v1 dst_sel:DWORD dst_unused:UNUSED_PAD src0_sel:DWORD src1_sel:WORD_1
	v_mov_b32_e32 v11, v8
	s_and_b64 vcc, exec, s[0:1]
	v_mov_b32_e32 v7, 0
	s_cbranch_vccnz .LBB0_8
; %bb.1:
	s_load_dwordx2 s[0:1], s[4:5], 0x10
	s_add_u32 s2, s18, 8
	s_addc_u32 s3, s19, 0
	s_add_u32 s6, s16, 8
	s_addc_u32 s7, s17, 0
	v_mov_b32_e32 v6, 0
	s_waitcnt lgkmcnt(0)
	s_add_u32 s20, s0, 8
	v_mov_b32_e32 v7, 0
	v_mov_b32_e32 v1, v6
	s_addc_u32 s21, s1, 0
	s_mov_b64 s[22:23], 1
	v_mov_b32_e32 v2, v7
.LBB0_2:                                ; =>This Inner Loop Header: Depth=1
	s_load_dwordx2 s[24:25], s[20:21], 0x0
                                        ; implicit-def: $vgpr3_vgpr4
	s_waitcnt lgkmcnt(0)
	v_or_b32_e32 v9, s25, v11
	v_cmp_ne_u64_e32 vcc, 0, v[8:9]
	s_and_saveexec_b64 s[0:1], vcc
	s_xor_b64 s[26:27], exec, s[0:1]
	s_cbranch_execz .LBB0_4
; %bb.3:                                ;   in Loop: Header=BB0_2 Depth=1
	v_cvt_f32_u32_e32 v3, s24
	v_cvt_f32_u32_e32 v4, s25
	s_sub_u32 s0, 0, s24
	s_subb_u32 s1, 0, s25
	v_mac_f32_e32 v3, 0x4f800000, v4
	v_rcp_f32_e32 v3, v3
	v_mul_f32_e32 v3, 0x5f7ffffc, v3
	v_mul_f32_e32 v4, 0x2f800000, v3
	v_trunc_f32_e32 v4, v4
	v_mac_f32_e32 v3, 0xcf800000, v4
	v_cvt_u32_f32_e32 v4, v4
	v_cvt_u32_f32_e32 v3, v3
	v_mul_lo_u32 v5, s0, v4
	v_mul_hi_u32 v9, s0, v3
	v_mul_lo_u32 v13, s1, v3
	v_mul_lo_u32 v12, s0, v3
	v_add_u32_e32 v5, v9, v5
	v_add_u32_e32 v5, v5, v13
	v_mul_hi_u32 v9, v3, v12
	v_mul_lo_u32 v13, v3, v5
	v_mul_hi_u32 v15, v3, v5
	v_mul_hi_u32 v14, v4, v12
	v_mul_lo_u32 v12, v4, v12
	v_mul_hi_u32 v16, v4, v5
	v_add_co_u32_e32 v9, vcc, v9, v13
	v_addc_co_u32_e32 v13, vcc, 0, v15, vcc
	v_mul_lo_u32 v5, v4, v5
	v_add_co_u32_e32 v9, vcc, v9, v12
	v_addc_co_u32_e32 v9, vcc, v13, v14, vcc
	v_addc_co_u32_e32 v12, vcc, 0, v16, vcc
	v_add_co_u32_e32 v5, vcc, v9, v5
	v_addc_co_u32_e32 v9, vcc, 0, v12, vcc
	v_add_co_u32_e32 v3, vcc, v3, v5
	v_addc_co_u32_e32 v4, vcc, v4, v9, vcc
	v_mul_lo_u32 v5, s0, v4
	v_mul_hi_u32 v9, s0, v3
	v_mul_lo_u32 v12, s1, v3
	v_mul_lo_u32 v13, s0, v3
	v_add_u32_e32 v5, v9, v5
	v_add_u32_e32 v5, v5, v12
	v_mul_lo_u32 v14, v3, v5
	v_mul_hi_u32 v15, v3, v13
	v_mul_hi_u32 v16, v3, v5
	v_mul_hi_u32 v12, v4, v13
	v_mul_lo_u32 v13, v4, v13
	v_mul_hi_u32 v9, v4, v5
	v_add_co_u32_e32 v14, vcc, v15, v14
	v_addc_co_u32_e32 v15, vcc, 0, v16, vcc
	v_mul_lo_u32 v5, v4, v5
	v_add_co_u32_e32 v13, vcc, v14, v13
	v_addc_co_u32_e32 v12, vcc, v15, v12, vcc
	v_addc_co_u32_e32 v9, vcc, 0, v9, vcc
	v_add_co_u32_e32 v5, vcc, v12, v5
	v_addc_co_u32_e32 v9, vcc, 0, v9, vcc
	v_add_co_u32_e32 v5, vcc, v3, v5
	v_addc_co_u32_e32 v9, vcc, v4, v9, vcc
	v_mad_u64_u32 v[3:4], s[0:1], v10, v9, 0
	v_mul_hi_u32 v12, v10, v5
	v_add_co_u32_e32 v14, vcc, v12, v3
	v_addc_co_u32_e32 v15, vcc, 0, v4, vcc
	v_mad_u64_u32 v[3:4], s[0:1], v11, v5, 0
	v_mad_u64_u32 v[12:13], s[0:1], v11, v9, 0
	v_add_co_u32_e32 v3, vcc, v14, v3
	v_addc_co_u32_e32 v3, vcc, v15, v4, vcc
	v_addc_co_u32_e32 v4, vcc, 0, v13, vcc
	v_add_co_u32_e32 v5, vcc, v3, v12
	v_addc_co_u32_e32 v9, vcc, 0, v4, vcc
	v_mul_lo_u32 v12, s25, v5
	v_mul_lo_u32 v13, s24, v9
	v_mad_u64_u32 v[3:4], s[0:1], s24, v5, 0
	v_add3_u32 v4, v4, v13, v12
	v_sub_u32_e32 v12, v11, v4
	v_mov_b32_e32 v13, s25
	v_sub_co_u32_e32 v3, vcc, v10, v3
	v_subb_co_u32_e64 v12, s[0:1], v12, v13, vcc
	v_subrev_co_u32_e64 v13, s[0:1], s24, v3
	v_subbrev_co_u32_e64 v12, s[0:1], 0, v12, s[0:1]
	v_cmp_le_u32_e64 s[0:1], s25, v12
	v_cndmask_b32_e64 v14, 0, -1, s[0:1]
	v_cmp_le_u32_e64 s[0:1], s24, v13
	v_cndmask_b32_e64 v13, 0, -1, s[0:1]
	v_cmp_eq_u32_e64 s[0:1], s25, v12
	v_cndmask_b32_e64 v12, v14, v13, s[0:1]
	v_add_co_u32_e64 v13, s[0:1], 2, v5
	v_addc_co_u32_e64 v14, s[0:1], 0, v9, s[0:1]
	v_add_co_u32_e64 v15, s[0:1], 1, v5
	v_addc_co_u32_e64 v16, s[0:1], 0, v9, s[0:1]
	v_subb_co_u32_e32 v4, vcc, v11, v4, vcc
	v_cmp_ne_u32_e64 s[0:1], 0, v12
	v_cmp_le_u32_e32 vcc, s25, v4
	v_cndmask_b32_e64 v12, v16, v14, s[0:1]
	v_cndmask_b32_e64 v14, 0, -1, vcc
	v_cmp_le_u32_e32 vcc, s24, v3
	v_cndmask_b32_e64 v3, 0, -1, vcc
	v_cmp_eq_u32_e32 vcc, s25, v4
	v_cndmask_b32_e32 v3, v14, v3, vcc
	v_cmp_ne_u32_e32 vcc, 0, v3
	v_cndmask_b32_e64 v3, v15, v13, s[0:1]
	v_cndmask_b32_e32 v4, v9, v12, vcc
	v_cndmask_b32_e32 v3, v5, v3, vcc
.LBB0_4:                                ;   in Loop: Header=BB0_2 Depth=1
	s_andn2_saveexec_b64 s[0:1], s[26:27]
	s_cbranch_execz .LBB0_6
; %bb.5:                                ;   in Loop: Header=BB0_2 Depth=1
	v_cvt_f32_u32_e32 v3, s24
	s_sub_i32 s26, 0, s24
	v_rcp_iflag_f32_e32 v3, v3
	v_mul_f32_e32 v3, 0x4f7ffffe, v3
	v_cvt_u32_f32_e32 v3, v3
	v_mul_lo_u32 v4, s26, v3
	v_mul_hi_u32 v4, v3, v4
	v_add_u32_e32 v3, v3, v4
	v_mul_hi_u32 v3, v10, v3
	v_mul_lo_u32 v4, v3, s24
	v_add_u32_e32 v5, 1, v3
	v_sub_u32_e32 v4, v10, v4
	v_subrev_u32_e32 v9, s24, v4
	v_cmp_le_u32_e32 vcc, s24, v4
	v_cndmask_b32_e32 v4, v4, v9, vcc
	v_cndmask_b32_e32 v3, v3, v5, vcc
	v_add_u32_e32 v5, 1, v3
	v_cmp_le_u32_e32 vcc, s24, v4
	v_cndmask_b32_e32 v3, v3, v5, vcc
	v_mov_b32_e32 v4, v8
.LBB0_6:                                ;   in Loop: Header=BB0_2 Depth=1
	s_or_b64 exec, exec, s[0:1]
	v_mul_lo_u32 v5, v4, s24
	v_mul_lo_u32 v9, v3, s25
	v_mad_u64_u32 v[12:13], s[0:1], v3, s24, 0
	s_load_dwordx2 s[0:1], s[6:7], 0x0
	s_load_dwordx2 s[24:25], s[2:3], 0x0
	v_add3_u32 v5, v13, v9, v5
	v_sub_co_u32_e32 v9, vcc, v10, v12
	v_subb_co_u32_e32 v5, vcc, v11, v5, vcc
	s_waitcnt lgkmcnt(0)
	v_mul_lo_u32 v10, s0, v5
	v_mul_lo_u32 v11, s1, v9
	v_mad_u64_u32 v[6:7], s[0:1], s0, v9, v[6:7]
	s_add_u32 s22, s22, 1
	s_addc_u32 s23, s23, 0
	s_add_u32 s2, s2, 8
	v_mul_lo_u32 v5, s24, v5
	v_mul_lo_u32 v12, s25, v9
	v_mad_u64_u32 v[1:2], s[0:1], s24, v9, v[1:2]
	v_add3_u32 v7, v11, v7, v10
	s_addc_u32 s3, s3, 0
	v_mov_b32_e32 v9, s14
	s_add_u32 s6, s6, 8
	v_mov_b32_e32 v10, s15
	s_addc_u32 s7, s7, 0
	v_cmp_ge_u64_e32 vcc, s[22:23], v[9:10]
	s_add_u32 s20, s20, 8
	v_add3_u32 v2, v12, v2, v5
	s_addc_u32 s21, s21, 0
	s_cbranch_vccnz .LBB0_9
; %bb.7:                                ;   in Loop: Header=BB0_2 Depth=1
	v_mov_b32_e32 v11, v4
	v_mov_b32_e32 v10, v3
	s_branch .LBB0_2
.LBB0_8:
	v_mov_b32_e32 v1, v6
	v_mov_b32_e32 v3, v10
	;; [unrolled: 1-line block ×4, first 2 shown]
.LBB0_9:
	s_load_dwordx2 s[0:1], s[4:5], 0x28
	s_lshl_b64 s[6:7], s[14:15], 3
	s_add_u32 s2, s18, s6
	s_addc_u32 s3, s19, s7
                                        ; implicit-def: $vgpr5
                                        ; implicit-def: $vgpr18
                                        ; implicit-def: $vgpr9
                                        ; implicit-def: $vgpr8
                                        ; implicit-def: $vgpr14
                                        ; implicit-def: $vgpr13
	s_waitcnt lgkmcnt(0)
	v_cmp_gt_u64_e32 vcc, s[0:1], v[3:4]
	v_cmp_le_u64_e64 s[0:1], s[0:1], v[3:4]
	s_and_saveexec_b64 s[4:5], s[0:1]
	s_xor_b64 s[0:1], exec, s[4:5]
; %bb.10:
	s_mov_b32 s4, 0x4104105
	v_mul_hi_u32 v5, v0, s4
                                        ; implicit-def: $vgpr6_vgpr7
	v_mul_u32_u24_e32 v5, 63, v5
	v_sub_u32_e32 v5, v0, v5
	v_add_u32_e32 v18, 63, v5
	v_add_u32_e32 v9, 0x7e, v5
	;; [unrolled: 1-line block ×5, first 2 shown]
                                        ; implicit-def: $vgpr0
; %bb.11:
	s_andn2_saveexec_b64 s[4:5], s[0:1]
	s_cbranch_execz .LBB0_13
; %bb.12:
	s_add_u32 s0, s16, s6
	s_addc_u32 s1, s17, s7
	s_load_dwordx2 s[0:1], s[0:1], 0x0
	s_mov_b32 s6, 0x4104105
	v_mul_hi_u32 v5, v0, s6
	v_lshlrev_b64 v[6:7], 2, v[6:7]
	s_waitcnt lgkmcnt(0)
	v_mul_lo_u32 v10, s1, v3
	v_mul_lo_u32 v11, s0, v4
	v_mad_u64_u32 v[8:9], s[0:1], s0, v3, 0
	v_mul_u32_u24_e32 v5, 63, v5
	v_sub_u32_e32 v5, v0, v5
	v_add3_u32 v9, v9, v11, v10
	v_lshlrev_b64 v[8:9], 2, v[8:9]
	v_mov_b32_e32 v0, s9
	v_add_co_u32_e64 v8, s[0:1], s8, v8
	v_addc_co_u32_e64 v0, s[0:1], v0, v9, s[0:1]
	v_add_co_u32_e64 v6, s[0:1], v8, v6
	v_addc_co_u32_e64 v0, s[0:1], v0, v7, s[0:1]
	v_lshlrev_b32_e32 v10, 2, v5
	v_add_co_u32_e64 v6, s[0:1], v6, v10
	v_addc_co_u32_e64 v7, s[0:1], 0, v0, s[0:1]
	global_load_dword v0, v[6:7], off
	global_load_dword v11, v[6:7], off offset:252
	global_load_dword v12, v[6:7], off offset:504
	;; [unrolled: 1-line block ×11, first 2 shown]
	v_add_u32_e32 v6, 0, v10
	v_add_u32_e32 v18, 63, v5
	;; [unrolled: 1-line block ×10, first 2 shown]
	s_waitcnt vmcnt(5)
	ds_write2_b32 v7, v19, v15 offset0:124 offset1:187
	ds_write2_b32 v6, v0, v11 offset1:63
	s_waitcnt vmcnt(4)
	ds_write2_b32 v6, v12, v20 offset0:126 offset1:189
	ds_write2_b32 v10, v16, v17 offset0:122 offset1:185
	s_waitcnt vmcnt(2)
	ds_write2_b32 v25, v21, v22 offset0:120 offset1:183
	s_waitcnt vmcnt(0)
	ds_write2_b32 v26, v23, v24 offset0:118 offset1:181
.LBB0_13:
	s_or_b64 exec, exec, s[4:5]
	v_lshlrev_b32_e32 v6, 2, v5
	v_add_u32_e32 v0, 0, v6
	s_load_dwordx2 s[2:3], s[2:3], 0x0
	s_waitcnt lgkmcnt(0)
	; wave barrier
	s_waitcnt lgkmcnt(0)
	ds_read2_b32 v[15:16], v0 offset1:63
	v_add_u32_e32 v19, 0x200, v0
	v_add_u32_e32 v10, 0x800, v0
	v_add_u32_e32 v21, 0x400, v0
	v_add_u32_e32 v17, v0, v6
	ds_read2_b32 v[6:7], v19 offset0:124 offset1:187
	ds_read2_b32 v[11:12], v10 offset0:118 offset1:181
	v_add_u32_e32 v20, 0x600, v0
	ds_read2_b32 v[22:23], v21 offset0:122 offset1:185
	ds_read2_b32 v[24:25], v0 offset0:126 offset1:189
	;; [unrolled: 1-line block ×3, first 2 shown]
	s_waitcnt lgkmcnt(0)
	; wave barrier
	s_waitcnt lgkmcnt(0)
	v_pk_add_f16 v22, v15, v22 neg_lo:[0,1] neg_hi:[0,1]
	v_pk_fma_f16 v15, v15, 2.0, v22 op_sel_hi:[1,0,1] neg_lo:[0,0,1] neg_hi:[0,0,1]
	ds_write2_b32 v17, v15, v22 offset1:1
	v_pk_add_f16 v15, v16, v23 neg_lo:[0,1] neg_hi:[0,1]
	v_pk_fma_f16 v16, v16, 2.0, v15 op_sel_hi:[1,0,1] neg_lo:[0,0,1] neg_hi:[0,0,1]
	v_lshl_add_u32 v22, v18, 3, 0
	ds_write2_b32 v22, v16, v15 offset1:1
	v_pk_add_f16 v16, v24, v26 neg_lo:[0,1] neg_hi:[0,1]
	v_lshl_add_u32 v15, v9, 3, 0
	v_pk_fma_f16 v17, v24, 2.0, v16 op_sel_hi:[1,0,1] neg_lo:[0,0,1] neg_hi:[0,0,1]
	ds_write2_b32 v15, v17, v16 offset1:1
	v_pk_add_f16 v16, v25, v27 neg_lo:[0,1] neg_hi:[0,1]
	v_pk_fma_f16 v17, v25, 2.0, v16 op_sel_hi:[1,0,1] neg_lo:[0,0,1] neg_hi:[0,0,1]
	v_lshl_add_u32 v24, v8, 3, 0
	v_pk_add_f16 v11, v6, v11 neg_lo:[0,1] neg_hi:[0,1]
	ds_write2_b32 v24, v17, v16 offset1:1
	v_lshl_add_u32 v16, v14, 3, 0
	v_pk_fma_f16 v6, v6, 2.0, v11 op_sel_hi:[1,0,1] neg_lo:[0,0,1] neg_hi:[0,0,1]
	ds_write2_b32 v16, v6, v11 offset1:1
	v_pk_add_f16 v6, v7, v12 neg_lo:[0,1] neg_hi:[0,1]
	v_lshl_add_u32 v17, v13, 3, 0
	v_pk_fma_f16 v7, v7, 2.0, v6 op_sel_hi:[1,0,1] neg_lo:[0,0,1] neg_hi:[0,0,1]
	v_and_b32_e32 v28, 1, v13
	v_and_b32_e32 v30, 1, v5
	ds_write2_b32 v17, v7, v6 offset1:1
	v_lshlrev_b32_e32 v6, 2, v28
	v_and_b32_e32 v29, 1, v8
	v_lshlrev_b32_e32 v11, 2, v30
	v_and_b32_e32 v33, 1, v18
	s_waitcnt lgkmcnt(0)
	; wave barrier
	s_waitcnt lgkmcnt(0)
	v_lshlrev_b32_e32 v7, 2, v29
	global_load_dword v31, v11, s[12:13]
	global_load_dword v32, v6, s[12:13]
	v_lshlrev_b32_e32 v6, 2, v33
	global_load_dword v34, v7, s[12:13]
	global_load_dword v35, v6, s[12:13]
	s_movk_i32 s1, 0x7c
	v_lshlrev_b32_e32 v26, 1, v5
	v_lshlrev_b32_e32 v6, 2, v9
	;; [unrolled: 1-line block ×3, first 2 shown]
	v_and_or_b32 v26, v26, s1, v30
	v_sub_u32_e32 v6, v15, v6
	v_sub_u32_e32 v12, v16, v12
	ds_read2_b32 v[15:16], v10 offset0:118 offset1:181
	v_lshl_add_u32 v36, v26, 2, 0
	ds_read2_b32 v[26:27], v21 offset0:122 offset1:185
	v_lshlrev_b32_e32 v7, 2, v8
	v_lshlrev_b32_e32 v25, 2, v13
	v_sub_u32_e32 v11, v24, v7
	v_sub_u32_e32 v17, v17, v25
	ds_read2_b32 v[24:25], v20 offset0:120 offset1:183
	s_mov_b32 s0, 0xffff
	v_lshlrev_b32_e32 v23, 2, v18
	v_sub_u32_e32 v7, v22, v23
	s_movk_i32 s1, 0xfc
	v_lshlrev_b32_e32 v14, 1, v14
	v_lshlrev_b32_e32 v13, 1, v13
	s_mov_b32 s4, 0xbaee
	s_movk_i32 s5, 0x3aee
	s_waitcnt vmcnt(3) lgkmcnt(2)
	v_pk_mul_f16 v38, v31, v15 op_sel:[0,1]
	s_waitcnt vmcnt(2)
	v_pk_mul_f16 v37, v32, v16 op_sel:[0,1]
	s_waitcnt lgkmcnt(1)
	v_pk_mul_f16 v42, v31, v26 op_sel:[0,1]
	v_pk_fma_f16 v43, v32, v16, v37 op_sel:[0,0,1] op_sel_hi:[1,1,0]
	s_waitcnt vmcnt(0)
	v_pk_mul_f16 v41, v35, v27 op_sel:[0,1]
	v_pk_fma_f16 v16, v32, v16, v37 op_sel:[0,0,1] op_sel_hi:[1,0,0] neg_lo:[1,0,0] neg_hi:[1,0,0]
	v_pk_fma_f16 v32, v31, v15, v38 op_sel:[0,0,1] op_sel_hi:[1,1,0]
	v_pk_fma_f16 v15, v31, v15, v38 op_sel:[0,0,1] op_sel_hi:[1,0,0] neg_lo:[1,0,0] neg_hi:[1,0,0]
	v_pk_fma_f16 v38, v35, v27, v41 op_sel:[0,0,1] op_sel_hi:[1,1,0]
	;; [unrolled: 2-line block ×3, first 2 shown]
	v_pk_fma_f16 v26, v31, v26, v42 op_sel:[0,0,1] op_sel_hi:[1,0,0] neg_lo:[1,0,0] neg_hi:[1,0,0]
	s_waitcnt lgkmcnt(0)
	v_pk_mul_f16 v39, v34, v25 op_sel:[0,1]
	v_pk_mul_f16 v40, v31, v24 op_sel:[0,1]
	v_bfi_b32 v26, s0, v35, v26
	v_pk_fma_f16 v37, v34, v25, v39 op_sel:[0,0,1] op_sel_hi:[1,1,0]
	v_pk_fma_f16 v25, v34, v25, v39 op_sel:[0,0,1] op_sel_hi:[1,0,0] neg_lo:[1,0,0] neg_hi:[1,0,0]
	v_pk_fma_f16 v34, v31, v24, v40 op_sel:[0,0,1] op_sel_hi:[1,1,0]
	v_pk_fma_f16 v24, v31, v24, v40 op_sel:[0,0,1] op_sel_hi:[1,0,0] neg_lo:[1,0,0] neg_hi:[1,0,0]
	ds_read_b32 v31, v0
	ds_read_b32 v35, v7
	ds_read_b32 v39, v6
	ds_read_b32 v40, v11
	ds_read_b32 v17, v17
	ds_read_b32 v41, v12
	s_waitcnt lgkmcnt(5)
	v_pk_add_f16 v26, v31, v26 neg_lo:[0,1] neg_hi:[0,1]
	v_pk_fma_f16 v31, v31, 2.0, v26 op_sel_hi:[1,0,1] neg_lo:[0,0,1] neg_hi:[0,0,1]
	s_waitcnt lgkmcnt(0)
	; wave barrier
	s_waitcnt lgkmcnt(0)
	ds_write2_b32 v36, v31, v26 offset1:2
	v_lshlrev_b32_e32 v26, 1, v18
	v_bfi_b32 v27, s0, v38, v27
	v_and_or_b32 v26, v26, s1, v33
	v_pk_add_f16 v27, v35, v27 neg_lo:[0,1] neg_hi:[0,1]
	v_lshl_add_u32 v26, v26, 2, 0
	v_pk_fma_f16 v31, v35, 2.0, v27 op_sel_hi:[1,0,1] neg_lo:[0,0,1] neg_hi:[0,0,1]
	ds_write2_b32 v26, v31, v27 offset1:2
	v_bfi_b32 v24, s0, v34, v24
	s_movk_i32 s1, 0x1fc
	v_lshlrev_b32_e32 v26, 1, v9
	v_and_or_b32 v26, v26, s1, v30
	v_pk_add_f16 v24, v39, v24 neg_lo:[0,1] neg_hi:[0,1]
	v_lshl_add_u32 v26, v26, 2, 0
	v_pk_fma_f16 v27, v39, 2.0, v24 op_sel_hi:[1,0,1] neg_lo:[0,0,1] neg_hi:[0,0,1]
	ds_write2_b32 v26, v27, v24 offset1:2
	v_lshlrev_b32_e32 v24, 1, v8
	v_bfi_b32 v25, s0, v37, v25
	v_and_or_b32 v24, v24, s1, v29
	v_pk_add_f16 v25, v40, v25 neg_lo:[0,1] neg_hi:[0,1]
	s_movk_i32 s1, 0x3fc
	v_bfi_b32 v15, s0, v32, v15
	v_lshl_add_u32 v24, v24, 2, 0
	v_pk_fma_f16 v26, v40, 2.0, v25 op_sel_hi:[1,0,1] neg_lo:[0,0,1] neg_hi:[0,0,1]
	v_and_or_b32 v14, v14, s1, v30
	v_pk_add_f16 v15, v41, v15 neg_lo:[0,1] neg_hi:[0,1]
	ds_write2_b32 v24, v26, v25 offset1:2
	v_lshl_add_u32 v14, v14, 2, 0
	v_pk_fma_f16 v24, v41, 2.0, v15 op_sel_hi:[1,0,1] neg_lo:[0,0,1] neg_hi:[0,0,1]
	ds_write2_b32 v14, v24, v15 offset1:2
	s_movk_i32 s1, 0x2fc
	v_bfi_b32 v14, s0, v43, v16
	v_and_or_b32 v13, v13, s1, v28
	v_pk_add_f16 v14, v17, v14 neg_lo:[0,1] neg_hi:[0,1]
	v_lshl_add_u32 v13, v13, 2, 0
	v_pk_fma_f16 v15, v17, 2.0, v14 op_sel_hi:[1,0,1] neg_lo:[0,0,1] neg_hi:[0,0,1]
	v_and_b32_e32 v17, 3, v18
	ds_write2_b32 v13, v15, v14 offset1:2
	v_lshlrev_b32_e32 v13, 3, v17
	s_waitcnt lgkmcnt(0)
	; wave barrier
	s_waitcnt lgkmcnt(0)
	global_load_dwordx2 v[13:14], v13, s[12:13] offset:8
	v_and_b32_e32 v32, 3, v9
	v_lshlrev_b32_e32 v15, 3, v32
	global_load_dwordx2 v[15:16], v15, s[12:13] offset:8
	v_and_b32_e32 v34, 3, v8
	v_and_b32_e32 v33, 3, v5
	v_lshlrev_b32_e32 v29, 3, v34
	v_lshlrev_b32_e32 v28, 3, v33
	global_load_dwordx2 v[24:25], v29, s[12:13] offset:8
	global_load_dwordx2 v[26:27], v28, s[12:13] offset:8
	ds_read2_b32 v[28:29], v21 offset0:59 offset1:122
	ds_read2_b32 v[30:31], v10 offset0:55 offset1:118
	s_movk_i32 s0, 0xab
	s_waitcnt lgkmcnt(1)
	v_lshrrev_b32_e32 v35, 16, v28
	s_waitcnt lgkmcnt(0)
	v_lshrrev_b32_e32 v36, 16, v30
	v_lshrrev_b32_e32 v37, 16, v29
	;; [unrolled: 1-line block ×3, first 2 shown]
	s_waitcnt vmcnt(3)
	v_mul_f16_sdwa v39, v13, v28 dst_sel:DWORD dst_unused:UNUSED_PAD src0_sel:WORD_1 src1_sel:DWORD
	v_mul_f16_sdwa v40, v13, v35 dst_sel:DWORD dst_unused:UNUSED_PAD src0_sel:WORD_1 src1_sel:DWORD
	v_fma_f16 v35, v13, v35, -v39
	ds_read_b32 v39, v12
	v_mul_f16_sdwa v41, v14, v30 dst_sel:DWORD dst_unused:UNUSED_PAD src0_sel:WORD_1 src1_sel:DWORD
	v_mul_f16_sdwa v42, v14, v36 dst_sel:DWORD dst_unused:UNUSED_PAD src0_sel:WORD_1 src1_sel:DWORD
	v_fma_f16 v36, v14, v36, -v41
	v_fma_f16 v28, v13, v28, v40
	v_fma_f16 v30, v14, v30, v42
	ds_read2_b32 v[13:14], v21 offset0:185 offset1:248
	s_waitcnt vmcnt(2)
	v_mul_f16_sdwa v43, v15, v37 dst_sel:DWORD dst_unused:UNUSED_PAD src0_sel:WORD_1 src1_sel:DWORD
	v_mul_f16_sdwa v44, v15, v29 dst_sel:DWORD dst_unused:UNUSED_PAD src0_sel:WORD_1 src1_sel:DWORD
	v_mul_f16_sdwa v45, v38, v16 dst_sel:DWORD dst_unused:UNUSED_PAD src0_sel:DWORD src1_sel:WORD_1
	v_mul_f16_sdwa v46, v31, v16 dst_sel:DWORD dst_unused:UNUSED_PAD src0_sel:DWORD src1_sel:WORD_1
	v_fma_f16 v29, v15, v29, v43
	v_fma_f16 v31, v31, v16, v45
	v_fma_f16 v15, v15, v37, -v44
	ds_read_b32 v37, v11
	ds_read_b32 v41, v0 offset:2772
	v_fma_f16 v16, v38, v16, -v46
	s_waitcnt lgkmcnt(3)
	v_lshrrev_b32_e32 v38, 16, v39
	s_waitcnt vmcnt(0)
	v_mul_f16_sdwa v40, v26, v38 dst_sel:DWORD dst_unused:UNUSED_PAD src0_sel:WORD_1 src1_sel:DWORD
	v_fma_f16 v40, v26, v39, v40
	v_mul_f16_sdwa v39, v26, v39 dst_sel:DWORD dst_unused:UNUSED_PAD src0_sel:WORD_1 src1_sel:DWORD
	v_fma_f16 v26, v26, v38, -v39
	s_waitcnt lgkmcnt(2)
	v_lshrrev_b32_e32 v38, 16, v14
	v_mul_f16_sdwa v39, v27, v14 dst_sel:DWORD dst_unused:UNUSED_PAD src0_sel:WORD_1 src1_sel:DWORD
	v_fma_f16 v39, v27, v38, -v39
	v_mul_f16_sdwa v38, v27, v38 dst_sel:DWORD dst_unused:UNUSED_PAD src0_sel:WORD_1 src1_sel:DWORD
	v_fma_f16 v14, v27, v14, v38
	v_lshrrev_b32_e32 v27, 16, v13
	v_mul_f16_sdwa v38, v27, v24 dst_sel:DWORD dst_unused:UNUSED_PAD src0_sel:DWORD src1_sel:WORD_1
	v_fma_f16 v38, v13, v24, v38
	v_mul_f16_sdwa v13, v13, v24 dst_sel:DWORD dst_unused:UNUSED_PAD src0_sel:DWORD src1_sel:WORD_1
	v_fma_f16 v13, v27, v24, -v13
	ds_read_b32 v24, v6
	ds_read_b32 v27, v7
	;; [unrolled: 1-line block ×3, first 2 shown]
	s_waitcnt lgkmcnt(3)
	v_lshrrev_b32_e32 v43, 16, v41
	v_mul_f16_sdwa v44, v43, v25 dst_sel:DWORD dst_unused:UNUSED_PAD src0_sel:DWORD src1_sel:WORD_1
	v_fma_f16 v44, v41, v25, v44
	v_mul_f16_sdwa v41, v41, v25 dst_sel:DWORD dst_unused:UNUSED_PAD src0_sel:DWORD src1_sel:WORD_1
	v_fma_f16 v25, v43, v25, -v41
	s_waitcnt lgkmcnt(0)
	v_lshrrev_b32_e32 v41, 16, v42
	v_add_f16_e32 v43, v41, v26
	v_sub_f16_e32 v45, v26, v39
	v_add_f16_e32 v26, v26, v39
	v_fma_f16 v26, v26, -0.5, v41
	v_add_f16_e32 v41, v42, v40
	v_add_f16_e32 v43, v43, v39
	;; [unrolled: 1-line block ×4, first 2 shown]
	v_sub_f16_e32 v14, v40, v14
	v_lshrrev_b32_e32 v40, 2, v5
	v_fma_f16 v39, v39, -0.5, v42
	v_mul_u32_u24_e32 v40, 12, v40
	v_or_b32_e32 v33, v40, v33
	v_pack_b32_f16 v40, v41, v43
	v_fma_f16 v41, v45, s4, v39
	v_fma_f16 v42, v14, s5, v26
	;; [unrolled: 1-line block ×4, first 2 shown]
	v_lshl_add_u32 v33, v33, 2, 0
	v_pack_b32_f16 v14, v39, v14
	s_waitcnt lgkmcnt(0)
	; wave barrier
	ds_write_b32 v33, v14 offset:32
	v_lshrrev_b32_e32 v14, 16, v27
	v_pack_b32_f16 v41, v41, v42
	v_add_f16_e32 v26, v14, v35
	ds_write2_b32 v33, v40, v41 offset1:4
	v_add_f16_e32 v26, v26, v36
	v_sub_f16_e32 v33, v35, v36
	v_add_f16_e32 v35, v35, v36
	v_lshrrev_b32_e32 v36, 2, v18
	v_mul_lo_u32 v36, v36, 12
	v_fma_f16 v14, v35, -0.5, v14
	v_add_f16_e32 v35, v28, v30
	v_fma_f16 v35, v35, -0.5, v27
	v_add_f16_e32 v27, v27, v28
	v_add_f16_e32 v27, v27, v30
	v_sub_f16_e32 v28, v28, v30
	v_or_b32_e32 v17, v36, v17
	v_pack_b32_f16 v26, v27, v26
	v_fma_f16 v27, v33, s4, v35
	v_fma_f16 v30, v28, s5, v14
	v_pack_b32_f16 v27, v27, v30
	v_lshl_add_u32 v17, v17, 2, 0
	ds_write2_b32 v17, v26, v27 offset1:4
	v_fma_f16 v26, v33, s5, v35
	v_fma_f16 v14, v28, s4, v14
	v_pack_b32_f16 v14, v26, v14
	ds_write_b32 v17, v14 offset:32
	v_lshrrev_b32_e32 v14, 16, v24
	v_add_f16_e32 v17, v14, v15
	v_add_f16_e32 v17, v17, v16
	v_sub_f16_e32 v26, v15, v16
	v_add_f16_e32 v15, v15, v16
	v_lshrrev_b32_e32 v16, 2, v9
	v_mul_lo_u32 v16, v16, 12
	v_fma_f16 v14, v15, -0.5, v14
	v_add_f16_e32 v15, v29, v31
	v_fma_f16 v15, v15, -0.5, v24
	v_add_f16_e32 v24, v24, v29
	v_add_f16_e32 v24, v24, v31
	v_sub_f16_e32 v27, v29, v31
	v_or_b32_e32 v16, v16, v32
	v_pack_b32_f16 v17, v24, v17
	v_fma_f16 v24, v26, s4, v15
	v_fma_f16 v28, v27, s5, v14
	v_pack_b32_f16 v24, v24, v28
	v_lshl_add_u32 v16, v16, 2, 0
	v_fma_f16 v15, v26, s5, v15
	v_fma_f16 v14, v27, s4, v14
	ds_write2_b32 v16, v17, v24 offset1:4
	v_pack_b32_f16 v14, v15, v14
	v_lshrrev_b32_e32 v17, 2, v8
	ds_write_b32 v16, v14 offset:32
	v_lshrrev_b32_e32 v14, 16, v37
	v_mul_lo_u32 v17, v17, 12
	v_add_f16_e32 v15, v14, v13
	v_sub_f16_e32 v16, v13, v25
	v_add_f16_e32 v13, v13, v25
	v_fma_f16 v13, v13, -0.5, v14
	v_add_f16_e32 v14, v38, v44
	v_add_f16_e32 v24, v37, v38
	;; [unrolled: 1-line block ×3, first 2 shown]
	v_fma_f16 v14, v14, -0.5, v37
	v_add_f16_e32 v24, v24, v44
	v_sub_f16_e32 v25, v38, v44
	v_or_b32_e32 v17, v17, v34
	v_pack_b32_f16 v15, v24, v15
	v_fma_f16 v24, v16, s4, v14
	v_fma_f16 v26, v25, s5, v13
	;; [unrolled: 1-line block ×4, first 2 shown]
	v_lshl_add_u32 v17, v17, 2, 0
	v_pack_b32_f16 v13, v14, v13
	ds_write_b32 v17, v13 offset:32
	v_mul_lo_u16_sdwa v13, v18, s0 dst_sel:DWORD dst_unused:UNUSED_PAD src0_sel:BYTE_0 src1_sel:DWORD
	v_lshrrev_b16_e32 v32, 11, v13
	v_mul_lo_u16_e32 v13, 12, v32
	v_sub_u16_e32 v33, v18, v13
	v_mov_b32_e32 v13, 3
	v_pack_b32_f16 v24, v24, v26
	v_lshlrev_b32_sdwa v14, v13, v33 dst_sel:DWORD dst_unused:UNUSED_PAD src0_sel:DWORD src1_sel:BYTE_0
	ds_write2_b32 v17, v15, v24 offset1:4
	s_waitcnt lgkmcnt(0)
	; wave barrier
	s_waitcnt lgkmcnt(0)
	global_load_dwordx2 v[14:15], v14, s[12:13] offset:40
	v_mul_lo_u16_sdwa v16, v9, s0 dst_sel:DWORD dst_unused:UNUSED_PAD src0_sel:BYTE_0 src1_sel:DWORD
	v_lshrrev_b16_e32 v34, 11, v16
	v_mul_lo_u16_e32 v16, 12, v34
	v_sub_u16_e32 v35, v9, v16
	v_lshlrev_b32_sdwa v16, v13, v35 dst_sel:DWORD dst_unused:UNUSED_PAD src0_sel:DWORD src1_sel:BYTE_0
	global_load_dwordx2 v[16:17], v16, s[12:13] offset:40
	v_mul_lo_u16_sdwa v24, v5, s0 dst_sel:DWORD dst_unused:UNUSED_PAD src0_sel:BYTE_0 src1_sel:DWORD
	v_lshrrev_b16_e32 v36, 11, v24
	v_mul_lo_u16_e32 v24, 12, v36
	v_sub_u16_e32 v37, v5, v24
	v_mul_lo_u16_sdwa v24, v8, s0 dst_sel:DWORD dst_unused:UNUSED_PAD src0_sel:BYTE_0 src1_sel:DWORD
	v_lshrrev_b16_e32 v38, 11, v24
	v_mul_lo_u16_e32 v24, 12, v38
	v_sub_u16_e32 v39, v8, v24
	v_lshlrev_b32_sdwa v29, v13, v39 dst_sel:DWORD dst_unused:UNUSED_PAD src0_sel:DWORD src1_sel:BYTE_0
	v_lshlrev_b32_sdwa v28, v13, v37 dst_sel:DWORD dst_unused:UNUSED_PAD src0_sel:DWORD src1_sel:BYTE_0
	global_load_dwordx2 v[24:25], v29, s[12:13] offset:40
	global_load_dwordx2 v[26:27], v28, s[12:13] offset:40
	ds_read2_b32 v[28:29], v21 offset0:59 offset1:122
	ds_read2_b32 v[30:31], v10 offset0:55 offset1:118
	ds_read_b32 v46, v0 offset:2772
	v_mul_u32_u24_e32 v36, 0x90, v36
	v_cmp_gt_u32_e64 s[0:1], 36, v5
	s_waitcnt lgkmcnt(2)
	v_lshrrev_b32_e32 v40, 16, v28
	s_waitcnt lgkmcnt(0)
	v_lshrrev_b32_e32 v48, 16, v46
	s_waitcnt vmcnt(3)
	v_mul_f16_sdwa v41, v14, v28 dst_sel:DWORD dst_unused:UNUSED_PAD src0_sel:WORD_1 src1_sel:DWORD
	v_fma_f16 v41, v14, v40, -v41
	v_mul_f16_sdwa v40, v14, v40 dst_sel:DWORD dst_unused:UNUSED_PAD src0_sel:WORD_1 src1_sel:DWORD
	v_fma_f16 v28, v14, v28, v40
	v_lshrrev_b32_e32 v14, 16, v30
	v_mul_f16_sdwa v40, v15, v30 dst_sel:DWORD dst_unused:UNUSED_PAD src0_sel:WORD_1 src1_sel:DWORD
	v_fma_f16 v40, v15, v14, -v40
	v_mul_f16_sdwa v14, v15, v14 dst_sel:DWORD dst_unused:UNUSED_PAD src0_sel:WORD_1 src1_sel:DWORD
	v_fma_f16 v30, v15, v30, v14
	v_lshrrev_b32_e32 v14, 16, v29
	s_waitcnt vmcnt(2)
	v_mul_f16_sdwa v15, v16, v14 dst_sel:DWORD dst_unused:UNUSED_PAD src0_sel:WORD_1 src1_sel:DWORD
	v_fma_f16 v42, v16, v29, v15
	v_mul_f16_sdwa v15, v16, v29 dst_sel:DWORD dst_unused:UNUSED_PAD src0_sel:WORD_1 src1_sel:DWORD
	v_fma_f16 v16, v16, v14, -v15
	v_lshrrev_b32_e32 v14, 16, v31
	ds_read_b32 v29, v12
	v_mul_f16_sdwa v15, v14, v17 dst_sel:DWORD dst_unused:UNUSED_PAD src0_sel:DWORD src1_sel:WORD_1
	v_fma_f16 v43, v31, v17, v15
	v_mul_f16_sdwa v15, v31, v17 dst_sel:DWORD dst_unused:UNUSED_PAD src0_sel:DWORD src1_sel:WORD_1
	ds_read_b32 v31, v11
	v_fma_f16 v17, v14, v17, -v15
	ds_read2_b32 v[14:15], v21 offset0:185 offset1:248
	s_waitcnt lgkmcnt(2)
	v_lshrrev_b32_e32 v44, 16, v29
	s_waitcnt vmcnt(0)
	v_mul_f16_sdwa v45, v26, v44 dst_sel:DWORD dst_unused:UNUSED_PAD src0_sel:WORD_1 src1_sel:DWORD
	v_fma_f16 v45, v26, v29, v45
	v_mul_f16_sdwa v29, v26, v29 dst_sel:DWORD dst_unused:UNUSED_PAD src0_sel:WORD_1 src1_sel:DWORD
	v_fma_f16 v26, v26, v44, -v29
	s_waitcnt lgkmcnt(0)
	v_lshrrev_b32_e32 v29, 16, v15
	v_mul_f16_sdwa v44, v27, v15 dst_sel:DWORD dst_unused:UNUSED_PAD src0_sel:WORD_1 src1_sel:DWORD
	v_fma_f16 v44, v27, v29, -v44
	v_mul_f16_sdwa v29, v27, v29 dst_sel:DWORD dst_unused:UNUSED_PAD src0_sel:WORD_1 src1_sel:DWORD
	v_fma_f16 v15, v27, v15, v29
	v_lshrrev_b32_e32 v27, 16, v14
	v_mul_f16_sdwa v29, v27, v24 dst_sel:DWORD dst_unused:UNUSED_PAD src0_sel:DWORD src1_sel:WORD_1
	v_fma_f16 v29, v14, v24, v29
	v_mul_f16_sdwa v14, v14, v24 dst_sel:DWORD dst_unused:UNUSED_PAD src0_sel:DWORD src1_sel:WORD_1
	v_fma_f16 v14, v27, v24, -v14
	ds_read_b32 v24, v6
	ds_read_b32 v27, v7
	;; [unrolled: 1-line block ×3, first 2 shown]
	v_mul_f16_sdwa v49, v48, v25 dst_sel:DWORD dst_unused:UNUSED_PAD src0_sel:DWORD src1_sel:WORD_1
	v_fma_f16 v49, v46, v25, v49
	v_mul_f16_sdwa v46, v46, v25 dst_sel:DWORD dst_unused:UNUSED_PAD src0_sel:DWORD src1_sel:WORD_1
	v_fma_f16 v25, v48, v25, -v46
	s_waitcnt lgkmcnt(0)
	v_lshrrev_b32_e32 v46, 16, v47
	v_add_f16_e32 v48, v46, v26
	v_sub_f16_e32 v50, v26, v44
	v_add_f16_e32 v26, v26, v44
	v_fma_f16 v26, v26, -0.5, v46
	v_add_f16_e32 v46, v47, v45
	v_add_f16_e32 v48, v48, v44
	v_add_f16_e32 v44, v45, v15
	v_add_f16_e32 v46, v46, v15
	v_sub_f16_e32 v15, v45, v15
	v_mov_b32_e32 v45, 2
	v_fma_f16 v44, v44, -0.5, v47
	v_lshlrev_b32_sdwa v37, v45, v37 dst_sel:DWORD dst_unused:UNUSED_PAD src0_sel:DWORD src1_sel:BYTE_0
	v_add3_u32 v36, 0, v36, v37
	v_pack_b32_f16 v37, v46, v48
	v_fma_f16 v46, v50, s4, v44
	v_fma_f16 v47, v15, s5, v26
	v_pack_b32_f16 v46, v46, v47
	s_waitcnt lgkmcnt(0)
	; wave barrier
	ds_write2_b32 v36, v37, v46 offset1:12
	v_fma_f16 v37, v50, s5, v44
	v_fma_f16 v15, v15, s4, v26
	v_pack_b32_f16 v15, v37, v15
	ds_write_b32 v36, v15 offset:96
	v_lshrrev_b32_e32 v15, 16, v27
	v_add_f16_e32 v37, v41, v40
	v_add_f16_e32 v26, v15, v41
	v_fma_f16 v15, v37, -0.5, v15
	v_add_f16_e32 v37, v28, v30
	v_fma_f16 v37, v37, -0.5, v27
	v_add_f16_e32 v27, v27, v28
	v_add_f16_e32 v26, v26, v40
	v_sub_f16_e32 v36, v41, v40
	v_add_f16_e32 v27, v27, v30
	v_sub_f16_e32 v28, v28, v30
	v_mul_u32_u24_e32 v30, 0x90, v32
	v_lshlrev_b32_sdwa v32, v45, v33 dst_sel:DWORD dst_unused:UNUSED_PAD src0_sel:DWORD src1_sel:BYTE_0
	v_add3_u32 v30, 0, v30, v32
	v_pack_b32_f16 v26, v27, v26
	v_fma_f16 v27, v36, s4, v37
	v_fma_f16 v32, v28, s5, v15
	v_pack_b32_f16 v27, v27, v32
	ds_write2_b32 v30, v26, v27 offset1:12
	v_fma_f16 v26, v36, s5, v37
	v_fma_f16 v15, v28, s4, v15
	v_pack_b32_f16 v15, v26, v15
	ds_write_b32 v30, v15 offset:96
	v_lshrrev_b32_e32 v15, 16, v24
	v_add_f16_e32 v26, v15, v16
	v_sub_f16_e32 v27, v16, v17
	v_add_f16_e32 v16, v16, v17
	v_add_f16_e32 v26, v26, v17
	v_fma_f16 v15, v16, -0.5, v15
	v_add_f16_e32 v16, v42, v43
	v_add_f16_e32 v17, v24, v42
	v_fma_f16 v16, v16, -0.5, v24
	v_add_f16_e32 v17, v17, v43
	v_sub_f16_e32 v24, v42, v43
	v_mul_u32_u24_e32 v28, 0x90, v34
	v_lshlrev_b32_sdwa v30, v45, v35 dst_sel:DWORD dst_unused:UNUSED_PAD src0_sel:DWORD src1_sel:BYTE_0
	v_add3_u32 v28, 0, v28, v30
	v_pack_b32_f16 v17, v17, v26
	v_fma_f16 v26, v27, s4, v16
	v_fma_f16 v30, v24, s5, v15
	v_fma_f16 v16, v27, s5, v16
	v_fma_f16 v15, v24, s4, v15
	v_pack_b32_f16 v15, v16, v15
	v_pack_b32_f16 v26, v26, v30
	ds_write_b32 v28, v15 offset:96
	v_lshrrev_b32_e32 v15, 16, v31
	ds_write2_b32 v28, v17, v26 offset1:12
	v_add_f16_e32 v16, v15, v14
	v_sub_f16_e32 v17, v14, v25
	v_add_f16_e32 v14, v14, v25
	v_fma_f16 v14, v14, -0.5, v15
	v_add_f16_e32 v15, v29, v49
	v_add_f16_e32 v24, v31, v29
	;; [unrolled: 1-line block ×3, first 2 shown]
	v_fma_f16 v15, v15, -0.5, v31
	v_add_f16_e32 v24, v24, v49
	v_sub_f16_e32 v25, v29, v49
	v_mul_u32_u24_e32 v26, 0x90, v38
	v_lshlrev_b32_sdwa v27, v45, v39 dst_sel:DWORD dst_unused:UNUSED_PAD src0_sel:DWORD src1_sel:BYTE_0
	v_add3_u32 v26, 0, v26, v27
	v_pack_b32_f16 v16, v24, v16
	v_fma_f16 v24, v17, s4, v15
	v_fma_f16 v27, v25, s5, v14
	;; [unrolled: 1-line block ×4, first 2 shown]
	v_pack_b32_f16 v24, v24, v27
	v_pack_b32_f16 v14, v15, v14
	ds_write2_b32 v26, v16, v24 offset1:12
	ds_write_b32 v26, v14 offset:96
	v_mov_b32_e32 v26, 57
	v_mul_lo_u16_sdwa v14, v18, v26 dst_sel:DWORD dst_unused:UNUSED_PAD src0_sel:BYTE_0 src1_sel:DWORD
	v_lshrrev_b16_e32 v30, 11, v14
	v_mul_lo_u16_sdwa v16, v9, v26 dst_sel:DWORD dst_unused:UNUSED_PAD src0_sel:BYTE_0 src1_sel:DWORD
	v_mul_lo_u16_e32 v14, 36, v30
	v_lshrrev_b16_e32 v32, 11, v16
	v_sub_u16_e32 v31, v18, v14
	v_mul_lo_u16_e32 v16, 36, v32
	v_lshlrev_b32_sdwa v14, v13, v31 dst_sel:DWORD dst_unused:UNUSED_PAD src0_sel:DWORD src1_sel:BYTE_0
	v_sub_u16_e32 v33, v9, v16
	s_waitcnt lgkmcnt(0)
	; wave barrier
	s_waitcnt lgkmcnt(0)
	global_load_dwordx2 v[14:15], v14, s[12:13] offset:136
	v_lshlrev_b32_sdwa v9, v13, v33 dst_sel:DWORD dst_unused:UNUSED_PAD src0_sel:DWORD src1_sel:BYTE_0
	global_load_dwordx2 v[16:17], v9, s[12:13] offset:136
	v_subrev_u32_e32 v9, 36, v5
	v_cndmask_b32_e64 v34, v9, v5, s[0:1]
	v_lshlrev_b32_e32 v24, 1, v34
	v_mov_b32_e32 v25, 0
	v_lshlrev_b64 v[24:25], 2, v[24:25]
	v_mov_b32_e32 v9, s13
	v_add_co_u32_e64 v24, s[0:1], s12, v24
	v_addc_co_u32_e64 v25, s[0:1], v9, v25, s[0:1]
	v_mul_lo_u16_sdwa v9, v8, v26 dst_sel:DWORD dst_unused:UNUSED_PAD src0_sel:BYTE_0 src1_sel:DWORD
	v_lshrrev_b16_e32 v35, 11, v9
	v_mul_lo_u16_e32 v9, 36, v35
	v_sub_u16_e32 v36, v8, v9
	v_lshlrev_b32_sdwa v13, v13, v36 dst_sel:DWORD dst_unused:UNUSED_PAD src0_sel:DWORD src1_sel:BYTE_0
	global_load_dwordx2 v[8:9], v13, s[12:13] offset:136
	global_load_dwordx2 v[26:27], v[24:25], off offset:136
	ds_read2_b32 v[24:25], v21 offset0:59 offset1:122
	ds_read2_b32 v[28:29], v10 offset0:55 offset1:118
	ds_read_b32 v38, v12
	ds_read_b32 v40, v0 offset:2772
	v_cmp_lt_u32_e64 s[0:1], 35, v5
	s_waitcnt lgkmcnt(3)
	v_lshrrev_b32_e32 v13, 16, v24
	v_lshlrev_b32_e32 v34, 2, v34
	s_waitcnt vmcnt(3)
	v_mul_f16_sdwa v37, v14, v24 dst_sel:DWORD dst_unused:UNUSED_PAD src0_sel:WORD_1 src1_sel:DWORD
	v_fma_f16 v37, v14, v13, -v37
	v_mul_f16_sdwa v13, v14, v13 dst_sel:DWORD dst_unused:UNUSED_PAD src0_sel:WORD_1 src1_sel:DWORD
	v_fma_f16 v13, v14, v24, v13
	s_waitcnt lgkmcnt(2)
	v_lshrrev_b32_e32 v14, 16, v28
	v_mul_f16_sdwa v24, v15, v28 dst_sel:DWORD dst_unused:UNUSED_PAD src0_sel:WORD_1 src1_sel:DWORD
	v_fma_f16 v24, v15, v14, -v24
	v_mul_f16_sdwa v14, v15, v14 dst_sel:DWORD dst_unused:UNUSED_PAD src0_sel:WORD_1 src1_sel:DWORD
	v_fma_f16 v14, v15, v28, v14
	v_lshrrev_b32_e32 v15, 16, v25
	s_waitcnt vmcnt(2)
	v_mul_f16_sdwa v28, v16, v15 dst_sel:DWORD dst_unused:UNUSED_PAD src0_sel:WORD_1 src1_sel:DWORD
	v_fma_f16 v28, v16, v25, v28
	v_mul_f16_sdwa v25, v16, v25 dst_sel:DWORD dst_unused:UNUSED_PAD src0_sel:WORD_1 src1_sel:DWORD
	v_fma_f16 v15, v16, v15, -v25
	v_lshrrev_b32_e32 v16, 16, v29
	v_mul_f16_sdwa v25, v16, v17 dst_sel:DWORD dst_unused:UNUSED_PAD src0_sel:DWORD src1_sel:WORD_1
	v_mul_f16_sdwa v12, v29, v17 dst_sel:DWORD dst_unused:UNUSED_PAD src0_sel:DWORD src1_sel:WORD_1
	v_fma_f16 v25, v29, v17, v25
	v_fma_f16 v16, v16, v17, -v12
	ds_read_b32 v17, v11
	ds_read2_b32 v[11:12], v21 offset0:185 offset1:248
	s_waitcnt lgkmcnt(3)
	v_lshrrev_b32_e32 v29, 16, v38
	s_waitcnt vmcnt(0)
	v_mul_f16_sdwa v39, v26, v29 dst_sel:DWORD dst_unused:UNUSED_PAD src0_sel:WORD_1 src1_sel:DWORD
	v_fma_f16 v39, v26, v38, v39
	v_mul_f16_sdwa v38, v26, v38 dst_sel:DWORD dst_unused:UNUSED_PAD src0_sel:WORD_1 src1_sel:DWORD
	v_fma_f16 v26, v26, v29, -v38
	s_waitcnt lgkmcnt(0)
	v_lshrrev_b32_e32 v29, 16, v12
	v_mul_f16_sdwa v38, v27, v12 dst_sel:DWORD dst_unused:UNUSED_PAD src0_sel:WORD_1 src1_sel:DWORD
	v_fma_f16 v38, v27, v29, -v38
	v_mul_f16_sdwa v29, v27, v29 dst_sel:DWORD dst_unused:UNUSED_PAD src0_sel:WORD_1 src1_sel:DWORD
	v_fma_f16 v12, v27, v12, v29
	v_lshrrev_b32_e32 v27, 16, v11
	v_mul_f16_sdwa v29, v27, v8 dst_sel:DWORD dst_unused:UNUSED_PAD src0_sel:DWORD src1_sel:WORD_1
	v_fma_f16 v29, v11, v8, v29
	v_mul_f16_sdwa v11, v11, v8 dst_sel:DWORD dst_unused:UNUSED_PAD src0_sel:DWORD src1_sel:WORD_1
	v_fma_f16 v11, v27, v8, -v11
	ds_read_b32 v8, v6
	ds_read_b32 v27, v7
	;; [unrolled: 1-line block ×3, first 2 shown]
	v_lshrrev_b32_e32 v6, 16, v40
	v_mul_f16_sdwa v7, v6, v9 dst_sel:DWORD dst_unused:UNUSED_PAD src0_sel:DWORD src1_sel:WORD_1
	v_fma_f16 v42, v40, v9, v7
	v_mul_f16_sdwa v7, v40, v9 dst_sel:DWORD dst_unused:UNUSED_PAD src0_sel:DWORD src1_sel:WORD_1
	v_fma_f16 v40, v6, v9, -v7
	v_add_f16_e32 v6, v29, v42
	v_fma_f16 v7, v6, -0.5, v17
	v_sub_f16_e32 v9, v11, v40
	v_fma_f16 v6, v9, s4, v7
	v_fma_f16 v7, v9, s5, v7
	s_waitcnt lgkmcnt(0)
	v_lshrrev_b32_e32 v9, 16, v41
	v_add_f16_e32 v43, v9, v26
	v_add_f16_e32 v43, v43, v38
	v_sub_f16_e32 v44, v26, v38
	v_add_f16_e32 v26, v26, v38
	v_add_f16_e32 v38, v41, v39
	v_fma_f16 v9, v26, -0.5, v9
	v_add_f16_e32 v26, v39, v12
	v_add_f16_e32 v38, v38, v12
	v_sub_f16_e32 v12, v39, v12
	v_mov_b32_e32 v39, 0x1b0
	v_fma_f16 v26, v26, -0.5, v41
	v_cndmask_b32_e64 v39, 0, v39, s[0:1]
	v_add3_u32 v34, 0, v39, v34
	v_fma_f16 v39, v44, s4, v26
	v_fma_f16 v41, v12, s5, v9
	v_fma_f16 v26, v44, s5, v26
	v_fma_f16 v9, v12, s4, v9
	v_pack_b32_f16 v9, v26, v9
	s_waitcnt lgkmcnt(0)
	; wave barrier
	ds_write_b32 v34, v9 offset:288
	v_lshrrev_b32_e32 v9, 16, v27
	v_add_f16_e32 v12, v9, v37
	v_add_f16_e32 v12, v12, v24
	v_sub_f16_e32 v26, v37, v24
	v_add_f16_e32 v24, v37, v24
	v_fma_f16 v9, v24, -0.5, v9
	v_add_f16_e32 v24, v13, v14
	v_fma_f16 v24, v24, -0.5, v27
	v_add_f16_e32 v27, v27, v13
	v_add_f16_e32 v27, v27, v14
	v_sub_f16_e32 v13, v13, v14
	v_mul_u32_u24_e32 v14, 0x1b0, v30
	v_lshlrev_b32_sdwa v30, v45, v31 dst_sel:DWORD dst_unused:UNUSED_PAD src0_sel:DWORD src1_sel:BYTE_0
	v_add3_u32 v14, 0, v14, v30
	v_pack_b32_f16 v12, v27, v12
	v_fma_f16 v27, v26, s4, v24
	v_fma_f16 v30, v13, s5, v9
	v_pack_b32_f16 v38, v38, v43
	v_pack_b32_f16 v39, v39, v41
	;; [unrolled: 1-line block ×3, first 2 shown]
	ds_write2_b32 v34, v38, v39 offset1:36
	ds_write2_b32 v14, v12, v27 offset1:36
	v_fma_f16 v12, v26, s5, v24
	v_fma_f16 v9, v13, s4, v9
	v_pack_b32_f16 v9, v12, v9
	ds_write_b32 v14, v9 offset:288
	v_lshrrev_b32_e32 v9, 16, v8
	v_add_f16_e32 v14, v15, v16
	v_add_f16_e32 v12, v9, v15
	v_fma_f16 v9, v14, -0.5, v9
	v_add_f16_e32 v14, v28, v25
	v_add_f16_e32 v12, v12, v16
	v_sub_f16_e32 v13, v15, v16
	v_fma_f16 v14, v14, -0.5, v8
	v_add_f16_e32 v8, v8, v28
	v_sub_f16_e32 v15, v28, v25
	v_mul_u32_u24_e32 v16, 0x1b0, v32
	v_lshlrev_b32_sdwa v24, v45, v33 dst_sel:DWORD dst_unused:UNUSED_PAD src0_sel:DWORD src1_sel:BYTE_0
	v_add_f16_e32 v8, v8, v25
	v_add3_u32 v16, 0, v16, v24
	v_fma_f16 v24, v13, s4, v14
	v_fma_f16 v25, v15, s5, v9
	v_pack_b32_f16 v8, v8, v12
	v_pack_b32_f16 v12, v24, v25
	ds_write2_b32 v16, v8, v12 offset1:36
	v_fma_f16 v27, v15, s4, v9
	v_fma_f16 v8, v13, s5, v14
	v_lshrrev_b32_e32 v12, 16, v17
	v_pack_b32_f16 v9, v8, v27
	v_add_f16_e32 v13, v12, v11
	v_add_f16_e32 v11, v11, v40
	ds_write_b32 v16, v9 offset:288
	v_add_f16_e32 v9, v17, v29
	v_fma_f16 v11, v11, -0.5, v12
	v_sub_f16_e32 v12, v29, v42
	v_add_f16_e32 v9, v9, v42
	v_add_f16_e32 v26, v13, v40
	v_lshlrev_b32_sdwa v13, v45, v36 dst_sel:DWORD dst_unused:UNUSED_PAD src0_sel:DWORD src1_sel:BYTE_0
	v_mul_u32_u24_e32 v14, 0x1b0, v35
	v_fma_f16 v28, v12, s5, v11
	v_fma_f16 v29, v12, s4, v11
	v_add3_u32 v13, 0, v14, v13
	v_pack_b32_f16 v14, v9, v26
	v_pack_b32_f16 v15, v6, v28
	;; [unrolled: 1-line block ×3, first 2 shown]
	ds_write2_b32 v13, v14, v15 offset1:36
	ds_write_b32 v13, v11 offset:288
	s_waitcnt lgkmcnt(0)
	; wave barrier
	s_waitcnt lgkmcnt(0)
	ds_read_b32 v32, v0 offset:2592
	ds_read2_b32 v[12:13], v0 offset1:108
	ds_read2_b32 v[16:17], v19 offset0:88 offset1:196
	ds_read2_b32 v[14:15], v20 offset0:48 offset1:156
	v_cmp_gt_u32_e64 s[0:1], 45, v5
                                        ; implicit-def: $vgpr31
                                        ; implicit-def: $vgpr30
                                        ; implicit-def: $vgpr11
	s_and_saveexec_b64 s[4:5], s[0:1]
	s_cbranch_execz .LBB0_15
; %bb.14:
	v_sub_u32_e32 v6, 0, v23
	v_add_u32_e32 v6, v22, v6
	ds_read_b32 v24, v6
	ds_read2_b32 v[6:7], v21 offset0:131 offset1:239
	ds_read2_b32 v[8:9], v19 offset0:43 offset1:151
	;; [unrolled: 1-line block ×3, first 2 shown]
	ds_read_u16 v26, v0 offset:1118
	s_waitcnt lgkmcnt(4)
	v_lshrrev_b32_e32 v25, 16, v24
	s_waitcnt lgkmcnt(3)
	v_lshrrev_b32_e32 v28, 16, v6
	v_lshrrev_b32_e32 v29, 16, v7
	s_waitcnt lgkmcnt(1)
	v_lshrrev_b32_e32 v30, 16, v10
	v_lshrrev_b32_e32 v31, 16, v11
	;; [unrolled: 1-line block ×3, first 2 shown]
.LBB0_15:
	s_or_b64 exec, exec, s[4:5]
	v_mul_u32_u24_e32 v21, 6, v5
	v_lshlrev_b32_e32 v23, 2, v21
	global_load_dwordx4 v[33:36], v23, s[12:13] offset:424
	global_load_dwordx2 v[21:22], v23, s[12:13] offset:440
	s_waitcnt lgkmcnt(3)
	v_lshrrev_b32_e32 v23, 16, v32
	s_waitcnt lgkmcnt(0)
	v_lshrrev_b32_e32 v37, 16, v15
	v_lshrrev_b32_e32 v40, 16, v16
	;; [unrolled: 1-line block ×5, first 2 shown]
	s_movk_i32 s8, 0x2b26
	s_mov_b32 s9, 0xbcab
	s_movk_i32 s7, 0x39e0
	s_mov_b32 s14, 0xb9e0
	s_mov_b32 s17, 0xb574
	s_mov_b32 s6, 0xbb00
	s_movk_i32 s15, 0x3574
	s_mov_b32 s16, 0xb70e
	s_waitcnt lgkmcnt(0)
	; wave barrier
	s_waitcnt vmcnt(1)
	v_mul_f16_sdwa v42, v33, v41 dst_sel:DWORD dst_unused:UNUSED_PAD src0_sel:WORD_1 src1_sel:DWORD
	v_mul_f16_sdwa v43, v33, v13 dst_sel:DWORD dst_unused:UNUSED_PAD src0_sel:WORD_1 src1_sel:DWORD
	v_mul_f16_sdwa v44, v34, v40 dst_sel:DWORD dst_unused:UNUSED_PAD src0_sel:WORD_1 src1_sel:DWORD
	v_mul_f16_sdwa v45, v34, v16 dst_sel:DWORD dst_unused:UNUSED_PAD src0_sel:WORD_1 src1_sel:DWORD
	s_waitcnt vmcnt(0)
	v_mul_f16_sdwa v50, v21, v37 dst_sel:DWORD dst_unused:UNUSED_PAD src0_sel:WORD_1 src1_sel:DWORD
	v_mul_f16_sdwa v51, v21, v15 dst_sel:DWORD dst_unused:UNUSED_PAD src0_sel:WORD_1 src1_sel:DWORD
	v_mul_f16_sdwa v52, v22, v23 dst_sel:DWORD dst_unused:UNUSED_PAD src0_sel:WORD_1 src1_sel:DWORD
	v_mul_f16_sdwa v53, v22, v32 dst_sel:DWORD dst_unused:UNUSED_PAD src0_sel:WORD_1 src1_sel:DWORD
	v_mul_f16_sdwa v46, v35, v39 dst_sel:DWORD dst_unused:UNUSED_PAD src0_sel:WORD_1 src1_sel:DWORD
	v_mul_f16_sdwa v47, v35, v17 dst_sel:DWORD dst_unused:UNUSED_PAD src0_sel:WORD_1 src1_sel:DWORD
	v_mul_f16_sdwa v48, v36, v38 dst_sel:DWORD dst_unused:UNUSED_PAD src0_sel:WORD_1 src1_sel:DWORD
	v_mul_f16_sdwa v49, v36, v14 dst_sel:DWORD dst_unused:UNUSED_PAD src0_sel:WORD_1 src1_sel:DWORD
	v_fma_f16 v13, v33, v13, v42
	v_fma_f16 v33, v33, v41, -v43
	v_fma_f16 v16, v34, v16, v44
	v_fma_f16 v34, v34, v40, -v45
	;; [unrolled: 2-line block ×6, first 2 shown]
	v_add_f16_e32 v23, v13, v32
	v_add_f16_e32 v37, v33, v22
	v_sub_f16_e32 v13, v13, v32
	v_sub_f16_e32 v22, v33, v22
	v_add_f16_e32 v32, v16, v15
	v_add_f16_e32 v33, v34, v21
	v_sub_f16_e32 v15, v16, v15
	v_sub_f16_e32 v16, v34, v21
	;; [unrolled: 4-line block ×4, first 2 shown]
	v_sub_f16_e32 v23, v23, v21
	v_sub_f16_e32 v37, v37, v34
	;; [unrolled: 1-line block ×4, first 2 shown]
	v_add_f16_e32 v40, v14, v15
	v_add_f16_e32 v41, v17, v16
	v_sub_f16_e32 v42, v14, v15
	v_sub_f16_e32 v43, v17, v16
	v_add_f16_e32 v21, v21, v35
	v_add_f16_e32 v34, v34, v36
	v_sub_f16_e32 v14, v13, v14
	v_sub_f16_e32 v17, v22, v17
	;; [unrolled: 1-line block ×4, first 2 shown]
	v_add_f16_e32 v13, v40, v13
	v_add_f16_e32 v22, v41, v22
	v_mul_f16_e32 v23, 0x3a52, v23
	v_mul_f16_e32 v35, 0x3a52, v37
	;; [unrolled: 1-line block ×6, first 2 shown]
	v_add_f16_e32 v44, v21, v12
	v_add_f16_sdwa v12, v34, v12 dst_sel:DWORD dst_unused:UNUSED_PAD src0_sel:DWORD src1_sel:WORD_1
	v_mul_f16_e32 v42, 0xbb00, v15
	v_mul_f16_e32 v43, 0xbb00, v16
	v_fma_f16 v32, v32, s8, v23
	v_fma_f16 v33, v33, s8, v35
	v_fma_f16 v36, v38, s7, -v36
	v_fma_f16 v37, v39, s7, -v37
	;; [unrolled: 1-line block ×4, first 2 shown]
	v_fma_f16 v21, v21, s9, v44
	v_fma_f16 v34, v34, s9, v12
	;; [unrolled: 1-line block ×4, first 2 shown]
	v_fma_f16 v15, v15, s6, -v40
	v_fma_f16 v16, v16, s6, -v41
	;; [unrolled: 1-line block ×4, first 2 shown]
	v_add_f16_e32 v32, v32, v21
	v_add_f16_e32 v33, v33, v34
	v_add_f16_e32 v36, v36, v21
	v_add_f16_e32 v37, v37, v34
	v_add_f16_e32 v21, v23, v21
	v_add_f16_e32 v23, v35, v34
	v_fma_f16 v34, v13, s16, v38
	v_fma_f16 v35, v22, s16, v39
	;; [unrolled: 1-line block ×6, first 2 shown]
	v_add_f16_e32 v17, v35, v32
	v_sub_f16_e32 v22, v33, v34
	v_add_f16_e32 v38, v14, v21
	v_sub_f16_e32 v39, v23, v13
	v_sub_f16_e32 v40, v36, v16
	v_add_f16_e32 v41, v15, v37
	v_pack_b32_f16 v12, v44, v12
	v_pack_b32_f16 v17, v17, v22
	v_add_f16_e32 v16, v16, v36
	v_sub_f16_e32 v15, v37, v15
	v_sub_f16_e32 v14, v21, v14
	v_add_f16_e32 v13, v13, v23
	ds_write2_b32 v0, v12, v17 offset1:108
	v_pack_b32_f16 v12, v38, v39
	v_pack_b32_f16 v17, v40, v41
	v_sub_f16_e32 v21, v32, v35
	v_add_f16_e32 v23, v34, v33
	ds_write2_b32 v19, v12, v17 offset0:88 offset1:196
	v_pack_b32_f16 v12, v16, v15
	v_pack_b32_f16 v13, v14, v13
	ds_write2_b32 v20, v12, v13 offset0:48 offset1:156
	v_pack_b32_f16 v12, v21, v23
	ds_write_b32 v0, v12 offset:2592
	s_and_saveexec_b64 s[4:5], s[0:1]
	s_cbranch_execz .LBB0_17
; %bb.16:
	v_subrev_u32_e32 v12, 45, v5
	v_cndmask_b32_e64 v12, v12, v18, s[0:1]
	v_mul_i32_i24_e32 v12, 6, v12
	v_mov_b32_e32 v13, 0
	v_lshlrev_b64 v[12:13], 2, v[12:13]
	v_mov_b32_e32 v14, s13
	v_add_co_u32_e64 v16, s[0:1], s12, v12
	v_addc_co_u32_e64 v17, s[0:1], v14, v13, s[0:1]
	global_load_dwordx4 v[12:15], v[16:17], off offset:424
	global_load_dwordx2 v[18:19], v[16:17], off offset:440
	s_waitcnt vmcnt(1)
	v_mul_f16_sdwa v16, v27, v12 dst_sel:DWORD dst_unused:UNUSED_PAD src0_sel:DWORD src1_sel:WORD_1
	s_waitcnt vmcnt(0)
	v_mul_f16_sdwa v17, v31, v19 dst_sel:DWORD dst_unused:UNUSED_PAD src0_sel:DWORD src1_sel:WORD_1
	v_mul_f16_sdwa v20, v29, v15 dst_sel:DWORD dst_unused:UNUSED_PAD src0_sel:DWORD src1_sel:WORD_1
	;; [unrolled: 1-line block ×11, first 2 shown]
	v_fma_f16 v8, v8, v12, v16
	v_fma_f16 v11, v11, v19, v17
	;; [unrolled: 1-line block ×6, first 2 shown]
	v_fma_f16 v16, v31, v19, -v32
	v_fma_f16 v12, v27, v12, -v33
	;; [unrolled: 1-line block ×6, first 2 shown]
	v_sub_f16_e32 v18, v8, v11
	v_sub_f16_e32 v19, v7, v6
	;; [unrolled: 1-line block ×3, first 2 shown]
	v_add_f16_e32 v21, v12, v16
	v_add_f16_e32 v23, v13, v17
	;; [unrolled: 1-line block ×5, first 2 shown]
	v_sub_f16_e32 v9, v12, v16
	v_sub_f16_e32 v10, v15, v14
	;; [unrolled: 1-line block ×3, first 2 shown]
	v_add_f16_e32 v22, v14, v15
	v_add_f16_e32 v17, v23, v21
	;; [unrolled: 1-line block ×3, first 2 shown]
	v_sub_f16_e32 v28, v9, v10
	v_sub_f16_e32 v29, v10, v11
	v_add_f16_e32 v10, v10, v11
	v_sub_f16_e32 v12, v18, v19
	v_sub_f16_e32 v13, v19, v20
	v_add_f16_e32 v14, v19, v20
	v_sub_f16_e32 v15, v21, v22
	v_sub_f16_e32 v16, v22, v23
	;; [unrolled: 1-line block ×5, first 2 shown]
	v_add_f16_e32 v17, v22, v17
	v_add_f16_e32 v6, v6, v27
	;; [unrolled: 1-line block ×3, first 2 shown]
	v_sub_f16_e32 v9, v11, v9
	v_sub_f16_e32 v21, v23, v21
	;; [unrolled: 1-line block ×3, first 2 shown]
	v_mul_f16_e32 v8, 0x3846, v13
	v_add_f16_e32 v13, v14, v18
	v_mul_f16_e32 v14, 0x3a52, v15
	v_mul_f16_e32 v15, 0x2b26, v16
	;; [unrolled: 1-line block ×6, first 2 shown]
	v_add_f16_e32 v25, v25, v17
	v_add_f16_e32 v24, v24, v6
	v_mul_f16_e32 v11, 0xbb00, v9
	v_fma_f16 v27, v12, s17, v8
	v_fma_f16 v16, v16, s8, v14
	;; [unrolled: 1-line block ×3, first 2 shown]
	v_fma_f16 v12, v12, s15, -v23
	v_fma_f16 v14, v21, s14, -v14
	;; [unrolled: 1-line block ×3, first 2 shown]
	v_fma_f16 v17, v17, s9, v25
	v_fma_f16 v6, v6, s9, v24
	v_fma_f16 v11, v28, s15, -v11
	v_fma_f16 v15, v21, s7, -v15
	;; [unrolled: 1-line block ×5, first 2 shown]
	v_fma_f16 v29, v28, s17, v22
	v_fma_f16 v12, v13, s16, v12
	v_add_f16_e32 v26, v26, v6
	v_add_f16_e32 v14, v14, v17
	;; [unrolled: 1-line block ×3, first 2 shown]
	v_fma_f16 v11, v10, s16, v11
	v_add_f16_e32 v15, v15, v17
	v_fma_f16 v8, v13, s16, v8
	v_fma_f16 v9, v10, s16, v9
	v_add_f16_e32 v6, v7, v6
	v_fma_f16 v23, v13, s16, v27
	v_fma_f16 v27, v10, s16, v29
	v_sub_f16_e32 v13, v15, v8
	v_add_f16_e32 v7, v9, v6
	v_add_f16_e32 v8, v8, v15
	v_sub_f16_e32 v6, v6, v9
	v_sub_f16_e32 v9, v14, v12
	v_add_f16_e32 v10, v11, v18
	v_add_f16_e32 v16, v16, v17
	;; [unrolled: 1-line block ×3, first 2 shown]
	v_sub_f16_e32 v28, v18, v11
	v_pack_b32_f16 v9, v10, v9
	v_pack_b32_f16 v6, v6, v8
	v_add_u32_e32 v8, 0x400, v0
	v_add_f16_e32 v29, v23, v16
	v_sub_f16_e32 v30, v26, v27
	v_sub_f16_e32 v11, v16, v23
	v_add_f16_e32 v12, v27, v26
	ds_write2_b32 v8, v9, v6 offset0:23 offset1:131
	v_pack_b32_f16 v6, v7, v13
	v_pack_b32_f16 v7, v28, v31
	v_add_u32_e32 v8, 0x600, v0
	v_pack_b32_f16 v14, v24, v25
	v_pack_b32_f16 v11, v12, v11
	ds_write2_b32 v8, v6, v7 offset0:111 offset1:219
	v_pack_b32_f16 v6, v30, v29
	ds_write2_b32 v0, v14, v11 offset0:63 offset1:171
	ds_write_b32 v0, v6 offset:2844
.LBB0_17:
	s_or_b64 exec, exec, s[4:5]
	s_waitcnt lgkmcnt(0)
	; wave barrier
	s_waitcnt lgkmcnt(0)
	s_and_saveexec_b64 s[0:1], vcc
	s_cbranch_execz .LBB0_19
; %bb.18:
	v_mul_lo_u32 v0, s3, v3
	v_mul_lo_u32 v6, s2, v4
	v_mad_u64_u32 v[3:4], s[0:1], s2, v3, 0
	v_lshl_add_u32 v9, v5, 2, 0
	ds_read2_b32 v[7:8], v9 offset1:63
	v_add3_u32 v4, v4, v6, v0
	v_lshlrev_b64 v[3:4], 2, v[3:4]
	v_mov_b32_e32 v0, s11
	v_add_co_u32_e32 v3, vcc, s10, v3
	v_addc_co_u32_e32 v4, vcc, v0, v4, vcc
	v_lshlrev_b64 v[0:1], 2, v[1:2]
	v_mov_b32_e32 v6, 0
	v_add_co_u32_e32 v10, vcc, v3, v0
	v_addc_co_u32_e32 v4, vcc, v4, v1, vcc
	v_lshlrev_b64 v[0:1], 2, v[5:6]
	ds_read2_b32 v[2:3], v9 offset0:126 offset1:189
	v_add_co_u32_e32 v0, vcc, v10, v0
	v_addc_co_u32_e32 v1, vcc, v4, v1, vcc
	s_waitcnt lgkmcnt(1)
	global_store_dword v[0:1], v7, off
	v_add_u32_e32 v0, 63, v5
	v_mov_b32_e32 v1, v6
	v_lshlrev_b64 v[0:1], 2, v[0:1]
	v_add_co_u32_e32 v0, vcc, v10, v0
	v_addc_co_u32_e32 v1, vcc, v4, v1, vcc
	global_store_dword v[0:1], v8, off
	v_add_u32_e32 v0, 0x7e, v5
	v_mov_b32_e32 v1, v6
	v_lshlrev_b64 v[0:1], 2, v[0:1]
	v_add_co_u32_e32 v0, vcc, v10, v0
	v_addc_co_u32_e32 v1, vcc, v4, v1, vcc
	s_waitcnt lgkmcnt(0)
	global_store_dword v[0:1], v2, off
	v_add_u32_e32 v0, 0xbd, v5
	v_mov_b32_e32 v1, v6
	v_lshlrev_b64 v[0:1], 2, v[0:1]
	v_add_u32_e32 v2, 0x200, v9
	v_add_co_u32_e32 v0, vcc, v10, v0
	v_addc_co_u32_e32 v1, vcc, v4, v1, vcc
	global_store_dword v[0:1], v3, off
	v_add_u32_e32 v0, 0xfc, v5
	v_mov_b32_e32 v1, v6
	ds_read2_b32 v[2:3], v2 offset0:124 offset1:187
	v_lshlrev_b64 v[0:1], 2, v[0:1]
	v_add_co_u32_e32 v0, vcc, v10, v0
	v_addc_co_u32_e32 v1, vcc, v4, v1, vcc
	s_waitcnt lgkmcnt(0)
	global_store_dword v[0:1], v2, off
	v_add_u32_e32 v0, 0x13b, v5
	v_mov_b32_e32 v1, v6
	v_lshlrev_b64 v[0:1], 2, v[0:1]
	v_add_u32_e32 v2, 0x400, v9
	v_add_co_u32_e32 v0, vcc, v10, v0
	v_addc_co_u32_e32 v1, vcc, v4, v1, vcc
	global_store_dword v[0:1], v3, off
	v_add_u32_e32 v0, 0x17a, v5
	v_mov_b32_e32 v1, v6
	ds_read2_b32 v[2:3], v2 offset0:122 offset1:185
	;; [unrolled: 15-line block ×4, first 2 shown]
	v_lshlrev_b64 v[0:1], 2, v[0:1]
	v_add_u32_e32 v5, 0x2b5, v5
	v_add_co_u32_e32 v0, vcc, v10, v0
	v_addc_co_u32_e32 v1, vcc, v4, v1, vcc
	s_waitcnt lgkmcnt(0)
	global_store_dword v[0:1], v2, off
	v_lshlrev_b64 v[0:1], 2, v[5:6]
	v_add_co_u32_e32 v0, vcc, v10, v0
	v_addc_co_u32_e32 v1, vcc, v4, v1, vcc
	global_store_dword v[0:1], v3, off
.LBB0_19:
	s_endpgm
	.section	.rodata,"a",@progbits
	.p2align	6, 0x0
	.amdhsa_kernel fft_rtc_back_len756_factors_2_2_3_3_3_7_wgs_63_tpt_63_half_op_CI_CI_unitstride_sbrr_dirReg
		.amdhsa_group_segment_fixed_size 0
		.amdhsa_private_segment_fixed_size 0
		.amdhsa_kernarg_size 104
		.amdhsa_user_sgpr_count 6
		.amdhsa_user_sgpr_private_segment_buffer 1
		.amdhsa_user_sgpr_dispatch_ptr 0
		.amdhsa_user_sgpr_queue_ptr 0
		.amdhsa_user_sgpr_kernarg_segment_ptr 1
		.amdhsa_user_sgpr_dispatch_id 0
		.amdhsa_user_sgpr_flat_scratch_init 0
		.amdhsa_user_sgpr_private_segment_size 0
		.amdhsa_uses_dynamic_stack 0
		.amdhsa_system_sgpr_private_segment_wavefront_offset 0
		.amdhsa_system_sgpr_workgroup_id_x 1
		.amdhsa_system_sgpr_workgroup_id_y 0
		.amdhsa_system_sgpr_workgroup_id_z 0
		.amdhsa_system_sgpr_workgroup_info 0
		.amdhsa_system_vgpr_workitem_id 0
		.amdhsa_next_free_vgpr 54
		.amdhsa_next_free_sgpr 28
		.amdhsa_reserve_vcc 1
		.amdhsa_reserve_flat_scratch 0
		.amdhsa_float_round_mode_32 0
		.amdhsa_float_round_mode_16_64 0
		.amdhsa_float_denorm_mode_32 3
		.amdhsa_float_denorm_mode_16_64 3
		.amdhsa_dx10_clamp 1
		.amdhsa_ieee_mode 1
		.amdhsa_fp16_overflow 0
		.amdhsa_exception_fp_ieee_invalid_op 0
		.amdhsa_exception_fp_denorm_src 0
		.amdhsa_exception_fp_ieee_div_zero 0
		.amdhsa_exception_fp_ieee_overflow 0
		.amdhsa_exception_fp_ieee_underflow 0
		.amdhsa_exception_fp_ieee_inexact 0
		.amdhsa_exception_int_div_zero 0
	.end_amdhsa_kernel
	.text
.Lfunc_end0:
	.size	fft_rtc_back_len756_factors_2_2_3_3_3_7_wgs_63_tpt_63_half_op_CI_CI_unitstride_sbrr_dirReg, .Lfunc_end0-fft_rtc_back_len756_factors_2_2_3_3_3_7_wgs_63_tpt_63_half_op_CI_CI_unitstride_sbrr_dirReg
                                        ; -- End function
	.section	.AMDGPU.csdata,"",@progbits
; Kernel info:
; codeLenInByte = 8396
; NumSgprs: 32
; NumVgprs: 54
; ScratchSize: 0
; MemoryBound: 0
; FloatMode: 240
; IeeeMode: 1
; LDSByteSize: 0 bytes/workgroup (compile time only)
; SGPRBlocks: 3
; VGPRBlocks: 13
; NumSGPRsForWavesPerEU: 32
; NumVGPRsForWavesPerEU: 54
; Occupancy: 4
; WaveLimiterHint : 1
; COMPUTE_PGM_RSRC2:SCRATCH_EN: 0
; COMPUTE_PGM_RSRC2:USER_SGPR: 6
; COMPUTE_PGM_RSRC2:TRAP_HANDLER: 0
; COMPUTE_PGM_RSRC2:TGID_X_EN: 1
; COMPUTE_PGM_RSRC2:TGID_Y_EN: 0
; COMPUTE_PGM_RSRC2:TGID_Z_EN: 0
; COMPUTE_PGM_RSRC2:TIDIG_COMP_CNT: 0
	.type	__hip_cuid_836b5468f2af5e8d,@object ; @__hip_cuid_836b5468f2af5e8d
	.section	.bss,"aw",@nobits
	.globl	__hip_cuid_836b5468f2af5e8d
__hip_cuid_836b5468f2af5e8d:
	.byte	0                               ; 0x0
	.size	__hip_cuid_836b5468f2af5e8d, 1

	.ident	"AMD clang version 19.0.0git (https://github.com/RadeonOpenCompute/llvm-project roc-6.4.0 25133 c7fe45cf4b819c5991fe208aaa96edf142730f1d)"
	.section	".note.GNU-stack","",@progbits
	.addrsig
	.addrsig_sym __hip_cuid_836b5468f2af5e8d
	.amdgpu_metadata
---
amdhsa.kernels:
  - .args:
      - .actual_access:  read_only
        .address_space:  global
        .offset:         0
        .size:           8
        .value_kind:     global_buffer
      - .offset:         8
        .size:           8
        .value_kind:     by_value
      - .actual_access:  read_only
        .address_space:  global
        .offset:         16
        .size:           8
        .value_kind:     global_buffer
      - .actual_access:  read_only
        .address_space:  global
        .offset:         24
        .size:           8
        .value_kind:     global_buffer
      - .actual_access:  read_only
        .address_space:  global
        .offset:         32
        .size:           8
        .value_kind:     global_buffer
      - .offset:         40
        .size:           8
        .value_kind:     by_value
      - .actual_access:  read_only
        .address_space:  global
        .offset:         48
        .size:           8
        .value_kind:     global_buffer
      - .actual_access:  read_only
        .address_space:  global
        .offset:         56
        .size:           8
        .value_kind:     global_buffer
      - .offset:         64
        .size:           4
        .value_kind:     by_value
      - .actual_access:  read_only
        .address_space:  global
        .offset:         72
        .size:           8
        .value_kind:     global_buffer
      - .actual_access:  read_only
        .address_space:  global
        .offset:         80
        .size:           8
        .value_kind:     global_buffer
      - .actual_access:  read_only
        .address_space:  global
        .offset:         88
        .size:           8
        .value_kind:     global_buffer
      - .actual_access:  write_only
        .address_space:  global
        .offset:         96
        .size:           8
        .value_kind:     global_buffer
    .group_segment_fixed_size: 0
    .kernarg_segment_align: 8
    .kernarg_segment_size: 104
    .language:       OpenCL C
    .language_version:
      - 2
      - 0
    .max_flat_workgroup_size: 63
    .name:           fft_rtc_back_len756_factors_2_2_3_3_3_7_wgs_63_tpt_63_half_op_CI_CI_unitstride_sbrr_dirReg
    .private_segment_fixed_size: 0
    .sgpr_count:     32
    .sgpr_spill_count: 0
    .symbol:         fft_rtc_back_len756_factors_2_2_3_3_3_7_wgs_63_tpt_63_half_op_CI_CI_unitstride_sbrr_dirReg.kd
    .uniform_work_group_size: 1
    .uses_dynamic_stack: false
    .vgpr_count:     54
    .vgpr_spill_count: 0
    .wavefront_size: 64
amdhsa.target:   amdgcn-amd-amdhsa--gfx906
amdhsa.version:
  - 1
  - 2
...

	.end_amdgpu_metadata
